;; amdgpu-corpus repo=zjin-lcf/HeCBench kind=compiled arch=gfx1250 opt=O3
	.amdgcn_target "amdgcn-amd-amdhsa--gfx1250"
	.amdhsa_code_object_version 6
	.text
	.protected	_Z10k_findPeakPKfmP4Peak ; -- Begin function _Z10k_findPeakPKfmP4Peak
	.globl	_Z10k_findPeakPKfmP4Peak
	.p2align	8
	.type	_Z10k_findPeakPKfmP4Peak,@function
_Z10k_findPeakPKfmP4Peak:               ; @_Z10k_findPeakPKfmP4Peak
; %bb.0:
	s_clause 0x1
	s_load_b32 s3, s[0:1], 0x24
	s_load_b64 s[4:5], s[0:1], 0x8
	s_bfe_u32 s2, ttmp6, 0x4000c
	s_and_b32 s6, ttmp6, 15
	s_add_co_i32 s2, s2, 1
	s_getreg_b32 s7, hwreg(HW_REG_IB_STS2, 6, 4)
	s_mul_i32 s2, ttmp9, s2
	v_mov_b64_e32 v[4:5], 0
	s_add_co_i32 s6, s6, s2
	s_cmp_eq_u32 s7, 0
	v_mov_b32_e32 v3, 0
	s_cselect_b32 s2, ttmp9, s6
	s_mov_b32 s6, 0
	s_wait_kmcnt 0x0
	s_and_b32 s3, s3, 0xffff
	s_delay_alu instid0(SALU_CYCLE_1) | instskip(SKIP_1) | instid1(VALU_DEP_1)
	v_mad_u32 v2, s2, s3, v0
	s_mov_b32 s3, exec_lo
	v_cmpx_gt_u64_e64 s[4:5], v[2:3]
	s_cbranch_execz .LBB0_4
; %bb.1:
	s_load_b64 s[8:9], s[0:1], 0x0
	v_mov_b64_e32 v[4:5], 0
	v_mov_b64_e32 v[6:7], v[2:3]
	s_wait_kmcnt 0x0
	v_lshl_add_u64 v[8:9], v[2:3], 2, s[8:9]
	v_mov_b32_e32 v3, 0
.LBB0_2:                                ; =>This Inner Loop Header: Depth=1
	global_load_b32 v1, v[8:9], off
	s_wait_xcnt 0x0
	v_add_nc_u64_e32 v[8:9], 0x20000, v[8:9]
	s_wait_loadcnt 0x0
	v_cmp_gt_f32_e64 vcc_lo, |v1|, |v3|
	s_delay_alu instid0(VALU_DEP_1) | instskip(SKIP_2) | instid1(VALU_DEP_1)
	v_dual_cndmask_b32 v3, v3, v1, vcc_lo :: v_dual_cndmask_b32 v5, v5, v7, vcc_lo
	v_cndmask_b32_e32 v4, v4, v6, vcc_lo
	v_add_nc_u64_e32 v[6:7], 0x8000, v[6:7]
	v_cmp_le_u64_e32 vcc_lo, s[4:5], v[6:7]
	s_or_b32 s6, vcc_lo, s6
	s_delay_alu instid0(SALU_CYCLE_1)
	s_and_not1_b32 exec_lo, exec_lo, s6
	s_cbranch_execnz .LBB0_2
; %bb.3:
	s_or_b32 exec_lo, exec_lo, s6
.LBB0_4:
	s_delay_alu instid0(SALU_CYCLE_1)
	s_or_b32 exec_lo, exec_lo, s3
	s_load_b64 s[0:1], s[0:1], 0x10
	v_dual_lshlrev_b32 v1, 2, v0 :: v_dual_lshlrev_b32 v2, 3, v0
	s_mov_b32 s3, 0
	s_mov_b32 s4, exec_lo
	ds_store_b32 v1, v3 offset:2048
	ds_store_b64 v2, v[4:5]
	s_wait_dscnt 0x0
	s_barrier_signal -1
	s_barrier_wait -1
	v_cmpx_eq_u32_e32 0, v0
	s_cbranch_execz .LBB0_24
; %bb.5:
	v_mov_b64_e32 v[0:1], 0
	v_mov_b32_e32 v2, 0
	s_movk_i32 s4, 0xf800
	s_branch .LBB0_7
.LBB0_6:                                ;   in Loop: Header=BB0_7 Depth=1
	s_add_co_i32 s4, s4, 64
	s_add_co_i32 s3, s3, 32
	s_cmp_eq_u32 s4, 0
	s_cbranch_scc1 .LBB0_23
.LBB0_7:                                ; =>This Inner Loop Header: Depth=1
	v_mov_b32_e32 v3, s3
	ds_load_b32 v4, v3 offset:2048
	v_and_b32_e32 v3, 0x7fffffff, v2
	s_wait_dscnt 0x0
	v_and_b32_e32 v5, 0x7fffffff, v4
	s_delay_alu instid0(VALU_DEP_1)
	v_cmp_ngt_f32_e32 vcc_lo, v5, v3
	s_cbranch_vccnz .LBB0_9
; %bb.8:                                ;   in Loop: Header=BB0_7 Depth=1
	v_dual_mov_b32 v0, s4 :: v_dual_mov_b32 v3, v5
	v_mov_b32_e32 v2, v4
	ds_load_b64 v[0:1], v0 offset:2048
.LBB0_9:                                ;   in Loop: Header=BB0_7 Depth=1
	v_mov_b32_e32 v4, s3
	ds_load_b32 v4, v4 offset:2052
	s_wait_dscnt 0x0
	v_and_b32_e32 v5, 0x7fffffff, v4
	s_delay_alu instid0(VALU_DEP_1)
	v_cmp_ngt_f32_e32 vcc_lo, v5, v3
	s_cbranch_vccnz .LBB0_11
; %bb.10:                               ;   in Loop: Header=BB0_7 Depth=1
	v_dual_mov_b32 v0, s4 :: v_dual_mov_b32 v3, v5
	v_mov_b32_e32 v2, v4
	ds_load_b64 v[0:1], v0 offset:2056
.LBB0_11:                               ;   in Loop: Header=BB0_7 Depth=1
	v_mov_b32_e32 v4, s3
	ds_load_b32 v4, v4 offset:2056
	s_wait_dscnt 0x0
	v_and_b32_e32 v5, 0x7fffffff, v4
	s_delay_alu instid0(VALU_DEP_1)
	v_cmp_ngt_f32_e32 vcc_lo, v5, v3
	s_cbranch_vccnz .LBB0_13
; %bb.12:                               ;   in Loop: Header=BB0_7 Depth=1
	v_dual_mov_b32 v0, s4 :: v_dual_mov_b32 v3, v5
	v_mov_b32_e32 v2, v4
	ds_load_b64 v[0:1], v0 offset:2064
.LBB0_13:                               ;   in Loop: Header=BB0_7 Depth=1
	v_mov_b32_e32 v4, s3
	ds_load_b32 v4, v4 offset:2060
	s_wait_dscnt 0x0
	v_and_b32_e32 v5, 0x7fffffff, v4
	s_delay_alu instid0(VALU_DEP_1)
	v_cmp_ngt_f32_e32 vcc_lo, v5, v3
	s_cbranch_vccnz .LBB0_15
; %bb.14:                               ;   in Loop: Header=BB0_7 Depth=1
	v_dual_mov_b32 v0, s4 :: v_dual_mov_b32 v3, v5
	v_mov_b32_e32 v2, v4
	ds_load_b64 v[0:1], v0 offset:2072
.LBB0_15:                               ;   in Loop: Header=BB0_7 Depth=1
	v_mov_b32_e32 v4, s3
	ds_load_b32 v4, v4 offset:2064
	s_wait_dscnt 0x0
	v_and_b32_e32 v5, 0x7fffffff, v4
	s_delay_alu instid0(VALU_DEP_1)
	v_cmp_ngt_f32_e32 vcc_lo, v5, v3
	s_cbranch_vccnz .LBB0_17
; %bb.16:                               ;   in Loop: Header=BB0_7 Depth=1
	v_dual_mov_b32 v0, s4 :: v_dual_mov_b32 v3, v5
	v_mov_b32_e32 v2, v4
	ds_load_b64 v[0:1], v0 offset:2080
.LBB0_17:                               ;   in Loop: Header=BB0_7 Depth=1
	v_mov_b32_e32 v4, s3
	ds_load_b32 v4, v4 offset:2068
	s_wait_dscnt 0x0
	v_and_b32_e32 v5, 0x7fffffff, v4
	s_delay_alu instid0(VALU_DEP_1)
	v_cmp_ngt_f32_e32 vcc_lo, v5, v3
	s_cbranch_vccnz .LBB0_19
; %bb.18:                               ;   in Loop: Header=BB0_7 Depth=1
	v_dual_mov_b32 v0, s4 :: v_dual_mov_b32 v3, v5
	v_mov_b32_e32 v2, v4
	ds_load_b64 v[0:1], v0 offset:2088
.LBB0_19:                               ;   in Loop: Header=BB0_7 Depth=1
	v_mov_b32_e32 v4, s3
	ds_load_b32 v4, v4 offset:2072
	s_wait_dscnt 0x0
	v_and_b32_e32 v5, 0x7fffffff, v4
	s_delay_alu instid0(VALU_DEP_1)
	v_cmp_ngt_f32_e32 vcc_lo, v5, v3
	s_cbranch_vccnz .LBB0_21
; %bb.20:                               ;   in Loop: Header=BB0_7 Depth=1
	v_dual_mov_b32 v0, s4 :: v_dual_mov_b32 v3, v5
	v_mov_b32_e32 v2, v4
	ds_load_b64 v[0:1], v0 offset:2096
.LBB0_21:                               ;   in Loop: Header=BB0_7 Depth=1
	v_mov_b32_e32 v4, s3
	ds_load_b32 v4, v4 offset:2076
	s_wait_dscnt 0x0
	v_and_b32_e32 v5, 0x7fffffff, v4
	s_delay_alu instid0(VALU_DEP_1)
	v_cmp_ngt_f32_e32 vcc_lo, v5, v3
	s_cbranch_vccnz .LBB0_6
; %bb.22:                               ;   in Loop: Header=BB0_7 Depth=1
	v_dual_mov_b32 v0, s4 :: v_dual_mov_b32 v2, v4
	ds_load_b64 v[0:1], v0 offset:2104
	s_branch .LBB0_6
.LBB0_23:
	s_mov_b32 s3, 0
	v_mov_b32_e32 v3, 0
	s_lshl_b64 s[2:3], s[2:3], 4
	s_wait_kmcnt 0x0
	s_add_nc_u64 s[0:1], s[0:1], s[2:3]
	s_wait_dscnt 0x0
	global_store_b96 v3, v[0:2], s[0:1]
.LBB0_24:
	s_endpgm
	.section	.rodata,"a",@progbits
	.p2align	6, 0x0
	.amdhsa_kernel _Z10k_findPeakPKfmP4Peak
		.amdhsa_group_segment_fixed_size 3072
		.amdhsa_private_segment_fixed_size 0
		.amdhsa_kernarg_size 280
		.amdhsa_user_sgpr_count 2
		.amdhsa_user_sgpr_dispatch_ptr 0
		.amdhsa_user_sgpr_queue_ptr 0
		.amdhsa_user_sgpr_kernarg_segment_ptr 1
		.amdhsa_user_sgpr_dispatch_id 0
		.amdhsa_user_sgpr_kernarg_preload_length 0
		.amdhsa_user_sgpr_kernarg_preload_offset 0
		.amdhsa_user_sgpr_private_segment_size 0
		.amdhsa_wavefront_size32 1
		.amdhsa_uses_dynamic_stack 0
		.amdhsa_enable_private_segment 0
		.amdhsa_system_sgpr_workgroup_id_x 1
		.amdhsa_system_sgpr_workgroup_id_y 0
		.amdhsa_system_sgpr_workgroup_id_z 0
		.amdhsa_system_sgpr_workgroup_info 0
		.amdhsa_system_vgpr_workitem_id 0
		.amdhsa_next_free_vgpr 10
		.amdhsa_next_free_sgpr 10
		.amdhsa_named_barrier_count 0
		.amdhsa_reserve_vcc 1
		.amdhsa_float_round_mode_32 0
		.amdhsa_float_round_mode_16_64 0
		.amdhsa_float_denorm_mode_32 3
		.amdhsa_float_denorm_mode_16_64 3
		.amdhsa_fp16_overflow 0
		.amdhsa_memory_ordered 1
		.amdhsa_forward_progress 1
		.amdhsa_inst_pref_size 7
		.amdhsa_round_robin_scheduling 0
		.amdhsa_exception_fp_ieee_invalid_op 0
		.amdhsa_exception_fp_denorm_src 0
		.amdhsa_exception_fp_ieee_div_zero 0
		.amdhsa_exception_fp_ieee_overflow 0
		.amdhsa_exception_fp_ieee_underflow 0
		.amdhsa_exception_fp_ieee_inexact 0
		.amdhsa_exception_int_div_zero 0
	.end_amdhsa_kernel
	.text
.Lfunc_end0:
	.size	_Z10k_findPeakPKfmP4Peak, .Lfunc_end0-_Z10k_findPeakPKfmP4Peak
                                        ; -- End function
	.set _Z10k_findPeakPKfmP4Peak.num_vgpr, 10
	.set _Z10k_findPeakPKfmP4Peak.num_agpr, 0
	.set _Z10k_findPeakPKfmP4Peak.numbered_sgpr, 10
	.set _Z10k_findPeakPKfmP4Peak.num_named_barrier, 0
	.set _Z10k_findPeakPKfmP4Peak.private_seg_size, 0
	.set _Z10k_findPeakPKfmP4Peak.uses_vcc, 1
	.set _Z10k_findPeakPKfmP4Peak.uses_flat_scratch, 0
	.set _Z10k_findPeakPKfmP4Peak.has_dyn_sized_stack, 0
	.set _Z10k_findPeakPKfmP4Peak.has_recursion, 0
	.set _Z10k_findPeakPKfmP4Peak.has_indirect_call, 0
	.section	.AMDGPU.csdata,"",@progbits
; Kernel info:
; codeLenInByte = 832
; TotalNumSgprs: 12
; NumVgprs: 10
; ScratchSize: 0
; MemoryBound: 0
; FloatMode: 240
; IeeeMode: 1
; LDSByteSize: 3072 bytes/workgroup (compile time only)
; SGPRBlocks: 0
; VGPRBlocks: 0
; NumSGPRsForWavesPerEU: 12
; NumVGPRsForWavesPerEU: 10
; NamedBarCnt: 0
; Occupancy: 16
; WaveLimiterHint : 0
; COMPUTE_PGM_RSRC2:SCRATCH_EN: 0
; COMPUTE_PGM_RSRC2:USER_SGPR: 2
; COMPUTE_PGM_RSRC2:TRAP_HANDLER: 0
; COMPUTE_PGM_RSRC2:TGID_X_EN: 1
; COMPUTE_PGM_RSRC2:TGID_Y_EN: 0
; COMPUTE_PGM_RSRC2:TGID_Z_EN: 0
; COMPUTE_PGM_RSRC2:TIDIG_COMP_CNT: 0
	.text
	.protected	_Z13k_subtractPSFPKfiPfiiiiiiiff ; -- Begin function _Z13k_subtractPSFPKfiPfiiiiiiiff
	.globl	_Z13k_subtractPSFPKfiPfiiiiiiiff
	.p2align	8
	.type	_Z13k_subtractPSFPKfiPfiiiiiiiff,@function
_Z13k_subtractPSFPKfiPfiiiiiiiff:       ; @_Z13k_subtractPSFPKfiPfiiiiiiiff
; %bb.0:
	s_clause 0x1
	s_load_b32 s2, s[0:1], 0x4c
	s_load_b256 s[4:11], s[0:1], 0x18
	s_bfe_u32 s12, ttmp6, 0x4000c
	s_bfe_u32 s13, ttmp6, 0x40010
	s_add_co_i32 s12, s12, 1
	s_add_co_i32 s13, s13, 1
	s_and_b32 s3, ttmp6, 15
	s_bfe_u32 s14, ttmp6, 0x40004
	s_mul_i32 s12, ttmp9, s12
	s_mul_i32 s13, ttmp7, s13
	s_getreg_b32 s15, hwreg(HW_REG_IB_STS2, 6, 4)
	s_add_co_i32 s3, s3, s12
	s_add_co_i32 s14, s14, s13
	v_bfe_u32 v1, v0, 10, 10
	v_and_b32_e32 v0, 0x3ff, v0
	s_wait_kmcnt 0x0
	s_lshr_b32 s12, s2, 16
	s_and_b32 s2, s2, 0xffff
	s_cmp_eq_u32 s15, 0
	s_cselect_b32 s3, ttmp9, s3
	s_cselect_b32 s13, ttmp7, s14
	s_mul_i32 s3, s3, s2
	s_mul_i32 s13, s13, s12
	v_add3_u32 v0, s3, s5, v0
	v_add3_u32 v1, s13, s6, v1
	s_delay_alu instid0(VALU_DEP_2) | instskip(NEXT) | instid1(VALU_DEP_2)
	v_cmp_ge_i32_e32 vcc_lo, s7, v0
	v_cmp_ge_i32_e64 s2, s8, v1
	s_and_b32 s2, vcc_lo, s2
	s_delay_alu instid0(SALU_CYCLE_1)
	s_and_saveexec_b32 s3, s2
	s_cbranch_execz .LBB1_2
; %bb.1:
	s_clause 0x1
	s_load_b96 s[12:14], s[0:1], 0x0
	s_load_b64 s[2:3], s[0:1], 0x10
	v_subrev_nc_u32_e32 v2, s9, v0
	v_subrev_nc_u32_e32 v3, s10, v1
	v_mad_u32 v0, v1, s4, v0
	s_wait_xcnt 0x0
	s_load_b32 s0, s[0:1], 0x38
	s_wait_kmcnt 0x0
	v_mad_u32 v2, v3, s14, v2
	global_load_b32 v1, v2, s[12:13] scale_offset
	global_load_b32 v3, v0, s[2:3] scale_offset
	s_mul_f32 s0, s11, s0
	s_wait_loadcnt 0x0
	s_delay_alu instid0(SALU_CYCLE_2)
	v_fma_f32 v1, -s0, v1, v3
	global_store_b32 v0, v1, s[2:3] scale_offset
.LBB1_2:
	s_endpgm
	.section	.rodata,"a",@progbits
	.p2align	6, 0x0
	.amdhsa_kernel _Z13k_subtractPSFPKfiPfiiiiiiiff
		.amdhsa_group_segment_fixed_size 0
		.amdhsa_private_segment_fixed_size 0
		.amdhsa_kernarg_size 320
		.amdhsa_user_sgpr_count 2
		.amdhsa_user_sgpr_dispatch_ptr 0
		.amdhsa_user_sgpr_queue_ptr 0
		.amdhsa_user_sgpr_kernarg_segment_ptr 1
		.amdhsa_user_sgpr_dispatch_id 0
		.amdhsa_user_sgpr_kernarg_preload_length 0
		.amdhsa_user_sgpr_kernarg_preload_offset 0
		.amdhsa_user_sgpr_private_segment_size 0
		.amdhsa_wavefront_size32 1
		.amdhsa_uses_dynamic_stack 0
		.amdhsa_enable_private_segment 0
		.amdhsa_system_sgpr_workgroup_id_x 1
		.amdhsa_system_sgpr_workgroup_id_y 1
		.amdhsa_system_sgpr_workgroup_id_z 0
		.amdhsa_system_sgpr_workgroup_info 0
		.amdhsa_system_vgpr_workitem_id 1
		.amdhsa_next_free_vgpr 4
		.amdhsa_next_free_sgpr 16
		.amdhsa_named_barrier_count 0
		.amdhsa_reserve_vcc 1
		.amdhsa_float_round_mode_32 0
		.amdhsa_float_round_mode_16_64 0
		.amdhsa_float_denorm_mode_32 3
		.amdhsa_float_denorm_mode_16_64 3
		.amdhsa_fp16_overflow 0
		.amdhsa_memory_ordered 1
		.amdhsa_forward_progress 1
		.amdhsa_inst_pref_size 3
		.amdhsa_round_robin_scheduling 0
		.amdhsa_exception_fp_ieee_invalid_op 0
		.amdhsa_exception_fp_denorm_src 0
		.amdhsa_exception_fp_ieee_div_zero 0
		.amdhsa_exception_fp_ieee_overflow 0
		.amdhsa_exception_fp_ieee_underflow 0
		.amdhsa_exception_fp_ieee_inexact 0
		.amdhsa_exception_int_div_zero 0
	.end_amdhsa_kernel
	.text
.Lfunc_end1:
	.size	_Z13k_subtractPSFPKfiPfiiiiiiiff, .Lfunc_end1-_Z13k_subtractPSFPKfiPfiiiiiiiff
                                        ; -- End function
	.set _Z13k_subtractPSFPKfiPfiiiiiiiff.num_vgpr, 4
	.set _Z13k_subtractPSFPKfiPfiiiiiiiff.num_agpr, 0
	.set _Z13k_subtractPSFPKfiPfiiiiiiiff.numbered_sgpr, 16
	.set _Z13k_subtractPSFPKfiPfiiiiiiiff.num_named_barrier, 0
	.set _Z13k_subtractPSFPKfiPfiiiiiiiff.private_seg_size, 0
	.set _Z13k_subtractPSFPKfiPfiiiiiiiff.uses_vcc, 1
	.set _Z13k_subtractPSFPKfiPfiiiiiiiff.uses_flat_scratch, 0
	.set _Z13k_subtractPSFPKfiPfiiiiiiiff.has_dyn_sized_stack, 0
	.set _Z13k_subtractPSFPKfiPfiiiiiiiff.has_recursion, 0
	.set _Z13k_subtractPSFPKfiPfiiiiiiiff.has_indirect_call, 0
	.section	.AMDGPU.csdata,"",@progbits
; Kernel info:
; codeLenInByte = 296
; TotalNumSgprs: 18
; NumVgprs: 4
; ScratchSize: 0
; MemoryBound: 0
; FloatMode: 240
; IeeeMode: 1
; LDSByteSize: 0 bytes/workgroup (compile time only)
; SGPRBlocks: 0
; VGPRBlocks: 0
; NumSGPRsForWavesPerEU: 18
; NumVGPRsForWavesPerEU: 4
; NamedBarCnt: 0
; Occupancy: 16
; WaveLimiterHint : 0
; COMPUTE_PGM_RSRC2:SCRATCH_EN: 0
; COMPUTE_PGM_RSRC2:USER_SGPR: 2
; COMPUTE_PGM_RSRC2:TRAP_HANDLER: 0
; COMPUTE_PGM_RSRC2:TGID_X_EN: 1
; COMPUTE_PGM_RSRC2:TGID_Y_EN: 1
; COMPUTE_PGM_RSRC2:TGID_Z_EN: 0
; COMPUTE_PGM_RSRC2:TIDIG_COMP_CNT: 1
	.text
	.p2alignl 7, 3214868480
	.fill 96, 4, 3214868480
	.section	.AMDGPU.gpr_maximums,"",@progbits
	.set amdgpu.max_num_vgpr, 0
	.set amdgpu.max_num_agpr, 0
	.set amdgpu.max_num_sgpr, 0
	.text
	.type	__hip_cuid_97ef2af9908ce54f,@object ; @__hip_cuid_97ef2af9908ce54f
	.section	.bss,"aw",@nobits
	.globl	__hip_cuid_97ef2af9908ce54f
__hip_cuid_97ef2af9908ce54f:
	.byte	0                               ; 0x0
	.size	__hip_cuid_97ef2af9908ce54f, 1

	.ident	"AMD clang version 22.0.0git (https://github.com/RadeonOpenCompute/llvm-project roc-7.2.4 26084 f58b06dce1f9c15707c5f808fd002e18c2accf7e)"
	.section	".note.GNU-stack","",@progbits
	.addrsig
	.addrsig_sym __hip_cuid_97ef2af9908ce54f
	.amdgpu_metadata
---
amdhsa.kernels:
  - .args:
      - .actual_access:  read_only
        .address_space:  global
        .offset:         0
        .size:           8
        .value_kind:     global_buffer
      - .offset:         8
        .size:           8
        .value_kind:     by_value
      - .actual_access:  write_only
        .address_space:  global
        .offset:         16
        .size:           8
        .value_kind:     global_buffer
      - .offset:         24
        .size:           4
        .value_kind:     hidden_block_count_x
      - .offset:         28
        .size:           4
        .value_kind:     hidden_block_count_y
      - .offset:         32
        .size:           4
        .value_kind:     hidden_block_count_z
      - .offset:         36
        .size:           2
        .value_kind:     hidden_group_size_x
      - .offset:         38
        .size:           2
        .value_kind:     hidden_group_size_y
      - .offset:         40
        .size:           2
        .value_kind:     hidden_group_size_z
      - .offset:         42
        .size:           2
        .value_kind:     hidden_remainder_x
      - .offset:         44
        .size:           2
        .value_kind:     hidden_remainder_y
      - .offset:         46
        .size:           2
        .value_kind:     hidden_remainder_z
      - .offset:         64
        .size:           8
        .value_kind:     hidden_global_offset_x
      - .offset:         72
        .size:           8
        .value_kind:     hidden_global_offset_y
      - .offset:         80
        .size:           8
        .value_kind:     hidden_global_offset_z
      - .offset:         88
        .size:           2
        .value_kind:     hidden_grid_dims
    .group_segment_fixed_size: 3072
    .kernarg_segment_align: 8
    .kernarg_segment_size: 280
    .language:       OpenCL C
    .language_version:
      - 2
      - 0
    .max_flat_workgroup_size: 1024
    .name:           _Z10k_findPeakPKfmP4Peak
    .private_segment_fixed_size: 0
    .sgpr_count:     12
    .sgpr_spill_count: 0
    .symbol:         _Z10k_findPeakPKfmP4Peak.kd
    .uniform_work_group_size: 1
    .uses_dynamic_stack: false
    .vgpr_count:     10
    .vgpr_spill_count: 0
    .wavefront_size: 32
  - .args:
      - .actual_access:  read_only
        .address_space:  global
        .offset:         0
        .size:           8
        .value_kind:     global_buffer
      - .offset:         8
        .size:           4
        .value_kind:     by_value
      - .address_space:  global
        .offset:         16
        .size:           8
        .value_kind:     global_buffer
      - .offset:         24
        .size:           4
        .value_kind:     by_value
      - .offset:         28
        .size:           4
        .value_kind:     by_value
      - .offset:         32
        .size:           4
        .value_kind:     by_value
      - .offset:         36
        .size:           4
        .value_kind:     by_value
      - .offset:         40
        .size:           4
        .value_kind:     by_value
      - .offset:         44
        .size:           4
        .value_kind:     by_value
      - .offset:         48
        .size:           4
        .value_kind:     by_value
      - .offset:         52
        .size:           4
        .value_kind:     by_value
      - .offset:         56
        .size:           4
        .value_kind:     by_value
      - .offset:         64
        .size:           4
        .value_kind:     hidden_block_count_x
      - .offset:         68
        .size:           4
        .value_kind:     hidden_block_count_y
      - .offset:         72
        .size:           4
        .value_kind:     hidden_block_count_z
      - .offset:         76
        .size:           2
        .value_kind:     hidden_group_size_x
      - .offset:         78
        .size:           2
        .value_kind:     hidden_group_size_y
      - .offset:         80
        .size:           2
        .value_kind:     hidden_group_size_z
      - .offset:         82
        .size:           2
        .value_kind:     hidden_remainder_x
      - .offset:         84
        .size:           2
        .value_kind:     hidden_remainder_y
      - .offset:         86
        .size:           2
        .value_kind:     hidden_remainder_z
      - .offset:         104
        .size:           8
        .value_kind:     hidden_global_offset_x
      - .offset:         112
        .size:           8
        .value_kind:     hidden_global_offset_y
      - .offset:         120
        .size:           8
        .value_kind:     hidden_global_offset_z
      - .offset:         128
        .size:           2
        .value_kind:     hidden_grid_dims
    .group_segment_fixed_size: 0
    .kernarg_segment_align: 8
    .kernarg_segment_size: 320
    .language:       OpenCL C
    .language_version:
      - 2
      - 0
    .max_flat_workgroup_size: 1024
    .name:           _Z13k_subtractPSFPKfiPfiiiiiiiff
    .private_segment_fixed_size: 0
    .sgpr_count:     18
    .sgpr_spill_count: 0
    .symbol:         _Z13k_subtractPSFPKfiPfiiiiiiiff.kd
    .uniform_work_group_size: 1
    .uses_dynamic_stack: false
    .vgpr_count:     4
    .vgpr_spill_count: 0
    .wavefront_size: 32
amdhsa.target:   amdgcn-amd-amdhsa--gfx1250
amdhsa.version:
  - 1
  - 2
...

	.end_amdgpu_metadata
